;; amdgpu-corpus repo=ROCm/rocFFT kind=compiled arch=gfx906 opt=O3
	.text
	.amdgcn_target "amdgcn-amd-amdhsa--gfx906"
	.amdhsa_code_object_version 6
	.protected	fft_rtc_back_len1690_factors_13_10_13_wgs_169_tpt_169_sp_ip_CI_unitstride_sbrr_C2R_dirReg ; -- Begin function fft_rtc_back_len1690_factors_13_10_13_wgs_169_tpt_169_sp_ip_CI_unitstride_sbrr_C2R_dirReg
	.globl	fft_rtc_back_len1690_factors_13_10_13_wgs_169_tpt_169_sp_ip_CI_unitstride_sbrr_C2R_dirReg
	.p2align	8
	.type	fft_rtc_back_len1690_factors_13_10_13_wgs_169_tpt_169_sp_ip_CI_unitstride_sbrr_C2R_dirReg,@function
fft_rtc_back_len1690_factors_13_10_13_wgs_169_tpt_169_sp_ip_CI_unitstride_sbrr_C2R_dirReg: ; @fft_rtc_back_len1690_factors_13_10_13_wgs_169_tpt_169_sp_ip_CI_unitstride_sbrr_C2R_dirReg
; %bb.0:
	s_load_dwordx2 s[2:3], s[4:5], 0x50
	s_load_dwordx4 s[8:11], s[4:5], 0x0
	s_load_dwordx2 s[12:13], s[4:5], 0x18
	v_mul_u32_u24_e32 v1, 0x184, v0
	v_add_u32_sdwa v5, s6, v1 dst_sel:DWORD dst_unused:UNUSED_PAD src0_sel:DWORD src1_sel:WORD_1
	v_mov_b32_e32 v3, 0
	s_waitcnt lgkmcnt(0)
	v_cmp_lt_u64_e64 s[0:1], s[10:11], 2
	v_mov_b32_e32 v1, 0
	v_mov_b32_e32 v6, v3
	s_and_b64 vcc, exec, s[0:1]
	v_mov_b32_e32 v2, 0
	s_cbranch_vccnz .LBB0_8
; %bb.1:
	s_load_dwordx2 s[0:1], s[4:5], 0x10
	s_add_u32 s6, s12, 8
	s_addc_u32 s7, s13, 0
	v_mov_b32_e32 v1, 0
	v_mov_b32_e32 v2, 0
	s_waitcnt lgkmcnt(0)
	s_add_u32 s14, s0, 8
	s_addc_u32 s15, s1, 0
	s_mov_b64 s[16:17], 1
.LBB0_2:                                ; =>This Inner Loop Header: Depth=1
	s_load_dwordx2 s[18:19], s[14:15], 0x0
                                        ; implicit-def: $vgpr7_vgpr8
	s_waitcnt lgkmcnt(0)
	v_or_b32_e32 v4, s19, v6
	v_cmp_ne_u64_e32 vcc, 0, v[3:4]
	s_and_saveexec_b64 s[0:1], vcc
	s_xor_b64 s[20:21], exec, s[0:1]
	s_cbranch_execz .LBB0_4
; %bb.3:                                ;   in Loop: Header=BB0_2 Depth=1
	v_cvt_f32_u32_e32 v4, s18
	v_cvt_f32_u32_e32 v7, s19
	s_sub_u32 s0, 0, s18
	s_subb_u32 s1, 0, s19
	v_mac_f32_e32 v4, 0x4f800000, v7
	v_rcp_f32_e32 v4, v4
	v_mul_f32_e32 v4, 0x5f7ffffc, v4
	v_mul_f32_e32 v7, 0x2f800000, v4
	v_trunc_f32_e32 v7, v7
	v_mac_f32_e32 v4, 0xcf800000, v7
	v_cvt_u32_f32_e32 v7, v7
	v_cvt_u32_f32_e32 v4, v4
	v_mul_lo_u32 v8, s0, v7
	v_mul_hi_u32 v9, s0, v4
	v_mul_lo_u32 v11, s1, v4
	v_mul_lo_u32 v10, s0, v4
	v_add_u32_e32 v8, v9, v8
	v_add_u32_e32 v8, v8, v11
	v_mul_hi_u32 v9, v4, v10
	v_mul_lo_u32 v11, v4, v8
	v_mul_hi_u32 v13, v4, v8
	v_mul_hi_u32 v12, v7, v10
	v_mul_lo_u32 v10, v7, v10
	v_mul_hi_u32 v14, v7, v8
	v_add_co_u32_e32 v9, vcc, v9, v11
	v_addc_co_u32_e32 v11, vcc, 0, v13, vcc
	v_mul_lo_u32 v8, v7, v8
	v_add_co_u32_e32 v9, vcc, v9, v10
	v_addc_co_u32_e32 v9, vcc, v11, v12, vcc
	v_addc_co_u32_e32 v10, vcc, 0, v14, vcc
	v_add_co_u32_e32 v8, vcc, v9, v8
	v_addc_co_u32_e32 v9, vcc, 0, v10, vcc
	v_add_co_u32_e32 v4, vcc, v4, v8
	v_addc_co_u32_e32 v7, vcc, v7, v9, vcc
	v_mul_lo_u32 v8, s0, v7
	v_mul_hi_u32 v9, s0, v4
	v_mul_lo_u32 v10, s1, v4
	v_mul_lo_u32 v11, s0, v4
	v_add_u32_e32 v8, v9, v8
	v_add_u32_e32 v8, v8, v10
	v_mul_lo_u32 v12, v4, v8
	v_mul_hi_u32 v13, v4, v11
	v_mul_hi_u32 v14, v4, v8
	;; [unrolled: 1-line block ×3, first 2 shown]
	v_mul_lo_u32 v11, v7, v11
	v_mul_hi_u32 v9, v7, v8
	v_add_co_u32_e32 v12, vcc, v13, v12
	v_addc_co_u32_e32 v13, vcc, 0, v14, vcc
	v_mul_lo_u32 v8, v7, v8
	v_add_co_u32_e32 v11, vcc, v12, v11
	v_addc_co_u32_e32 v10, vcc, v13, v10, vcc
	v_addc_co_u32_e32 v9, vcc, 0, v9, vcc
	v_add_co_u32_e32 v8, vcc, v10, v8
	v_addc_co_u32_e32 v9, vcc, 0, v9, vcc
	v_add_co_u32_e32 v4, vcc, v4, v8
	v_addc_co_u32_e32 v9, vcc, v7, v9, vcc
	v_mad_u64_u32 v[7:8], s[0:1], v5, v9, 0
	v_mul_hi_u32 v10, v5, v4
	v_add_co_u32_e32 v11, vcc, v10, v7
	v_addc_co_u32_e32 v12, vcc, 0, v8, vcc
	v_mad_u64_u32 v[7:8], s[0:1], v6, v4, 0
	v_mad_u64_u32 v[9:10], s[0:1], v6, v9, 0
	v_add_co_u32_e32 v4, vcc, v11, v7
	v_addc_co_u32_e32 v4, vcc, v12, v8, vcc
	v_addc_co_u32_e32 v7, vcc, 0, v10, vcc
	v_add_co_u32_e32 v4, vcc, v4, v9
	v_addc_co_u32_e32 v9, vcc, 0, v7, vcc
	v_mul_lo_u32 v10, s19, v4
	v_mul_lo_u32 v11, s18, v9
	v_mad_u64_u32 v[7:8], s[0:1], s18, v4, 0
	v_add3_u32 v8, v8, v11, v10
	v_sub_u32_e32 v10, v6, v8
	v_mov_b32_e32 v11, s19
	v_sub_co_u32_e32 v7, vcc, v5, v7
	v_subb_co_u32_e64 v10, s[0:1], v10, v11, vcc
	v_subrev_co_u32_e64 v11, s[0:1], s18, v7
	v_subbrev_co_u32_e64 v10, s[0:1], 0, v10, s[0:1]
	v_cmp_le_u32_e64 s[0:1], s19, v10
	v_cndmask_b32_e64 v12, 0, -1, s[0:1]
	v_cmp_le_u32_e64 s[0:1], s18, v11
	v_cndmask_b32_e64 v11, 0, -1, s[0:1]
	v_cmp_eq_u32_e64 s[0:1], s19, v10
	v_cndmask_b32_e64 v10, v12, v11, s[0:1]
	v_add_co_u32_e64 v11, s[0:1], 2, v4
	v_addc_co_u32_e64 v12, s[0:1], 0, v9, s[0:1]
	v_add_co_u32_e64 v13, s[0:1], 1, v4
	v_addc_co_u32_e64 v14, s[0:1], 0, v9, s[0:1]
	v_subb_co_u32_e32 v8, vcc, v6, v8, vcc
	v_cmp_ne_u32_e64 s[0:1], 0, v10
	v_cmp_le_u32_e32 vcc, s19, v8
	v_cndmask_b32_e64 v10, v14, v12, s[0:1]
	v_cndmask_b32_e64 v12, 0, -1, vcc
	v_cmp_le_u32_e32 vcc, s18, v7
	v_cndmask_b32_e64 v7, 0, -1, vcc
	v_cmp_eq_u32_e32 vcc, s19, v8
	v_cndmask_b32_e32 v7, v12, v7, vcc
	v_cmp_ne_u32_e32 vcc, 0, v7
	v_cndmask_b32_e64 v7, v13, v11, s[0:1]
	v_cndmask_b32_e32 v8, v9, v10, vcc
	v_cndmask_b32_e32 v7, v4, v7, vcc
.LBB0_4:                                ;   in Loop: Header=BB0_2 Depth=1
	s_andn2_saveexec_b64 s[0:1], s[20:21]
	s_cbranch_execz .LBB0_6
; %bb.5:                                ;   in Loop: Header=BB0_2 Depth=1
	v_cvt_f32_u32_e32 v4, s18
	s_sub_i32 s20, 0, s18
	v_rcp_iflag_f32_e32 v4, v4
	v_mul_f32_e32 v4, 0x4f7ffffe, v4
	v_cvt_u32_f32_e32 v4, v4
	v_mul_lo_u32 v7, s20, v4
	v_mul_hi_u32 v7, v4, v7
	v_add_u32_e32 v4, v4, v7
	v_mul_hi_u32 v4, v5, v4
	v_mul_lo_u32 v7, v4, s18
	v_add_u32_e32 v8, 1, v4
	v_sub_u32_e32 v7, v5, v7
	v_subrev_u32_e32 v9, s18, v7
	v_cmp_le_u32_e32 vcc, s18, v7
	v_cndmask_b32_e32 v7, v7, v9, vcc
	v_cndmask_b32_e32 v4, v4, v8, vcc
	v_add_u32_e32 v8, 1, v4
	v_cmp_le_u32_e32 vcc, s18, v7
	v_cndmask_b32_e32 v7, v4, v8, vcc
	v_mov_b32_e32 v8, v3
.LBB0_6:                                ;   in Loop: Header=BB0_2 Depth=1
	s_or_b64 exec, exec, s[0:1]
	v_mul_lo_u32 v4, v8, s18
	v_mul_lo_u32 v11, v7, s19
	v_mad_u64_u32 v[9:10], s[0:1], v7, s18, 0
	s_load_dwordx2 s[0:1], s[6:7], 0x0
	s_add_u32 s16, s16, 1
	v_add3_u32 v4, v10, v11, v4
	v_sub_co_u32_e32 v5, vcc, v5, v9
	v_subb_co_u32_e32 v4, vcc, v6, v4, vcc
	s_waitcnt lgkmcnt(0)
	v_mul_lo_u32 v4, s0, v4
	v_mul_lo_u32 v6, s1, v5
	v_mad_u64_u32 v[1:2], s[0:1], s0, v5, v[1:2]
	s_addc_u32 s17, s17, 0
	s_add_u32 s6, s6, 8
	v_add3_u32 v2, v6, v2, v4
	v_mov_b32_e32 v4, s10
	v_mov_b32_e32 v5, s11
	s_addc_u32 s7, s7, 0
	v_cmp_ge_u64_e32 vcc, s[16:17], v[4:5]
	s_add_u32 s14, s14, 8
	s_addc_u32 s15, s15, 0
	s_cbranch_vccnz .LBB0_9
; %bb.7:                                ;   in Loop: Header=BB0_2 Depth=1
	v_mov_b32_e32 v5, v7
	v_mov_b32_e32 v6, v8
	s_branch .LBB0_2
.LBB0_8:
	v_mov_b32_e32 v8, v6
	v_mov_b32_e32 v7, v5
.LBB0_9:
	s_lshl_b64 s[0:1], s[10:11], 3
	s_add_u32 s0, s12, s0
	s_addc_u32 s1, s13, s1
	s_load_dwordx2 s[6:7], s[0:1], 0x0
	s_load_dwordx2 s[10:11], s[4:5], 0x20
	s_waitcnt lgkmcnt(0)
	v_mad_u64_u32 v[1:2], s[0:1], s6, v7, v[1:2]
	v_mul_lo_u32 v3, s6, v8
	v_mul_lo_u32 v4, s7, v7
	s_mov_b32 s0, 0x183c978
	v_mul_hi_u32 v5, v0, s0
	v_cmp_gt_u64_e64 s[0:1], s[10:11], v[7:8]
	v_add3_u32 v2, v4, v2, v3
	v_lshlrev_b64 v[30:31], 3, v[1:2]
	v_mul_u32_u24_e32 v3, 0xa9, v5
	v_sub_u32_e32 v28, v0, v3
	s_and_saveexec_b64 s[4:5], s[0:1]
	s_cbranch_execz .LBB0_13
; %bb.10:
	v_mov_b32_e32 v29, 0
	v_mov_b32_e32 v0, s3
	v_add_co_u32_e32 v1, vcc, s2, v30
	v_lshlrev_b64 v[2:3], 3, v[28:29]
	v_addc_co_u32_e32 v0, vcc, v0, v31, vcc
	v_add_co_u32_e32 v2, vcc, v1, v2
	v_addc_co_u32_e32 v3, vcc, v0, v3, vcc
	s_movk_i32 s6, 0x1000
	v_add_co_u32_e32 v6, vcc, s6, v2
	v_addc_co_u32_e32 v7, vcc, 0, v3, vcc
	v_add_co_u32_e32 v8, vcc, 0x2000, v2
	global_load_dwordx2 v[4:5], v[2:3], off offset:4056
	v_addc_co_u32_e32 v9, vcc, 0, v3, vcc
	global_load_dwordx2 v[10:11], v[2:3], off
	global_load_dwordx2 v[12:13], v[2:3], off offset:2704
	global_load_dwordx2 v[14:15], v[2:3], off offset:1352
	;; [unrolled: 1-line block ×8, first 2 shown]
	v_lshl_add_u32 v2, v28, 3, 0
	s_movk_i32 s6, 0xa8
	v_add_u32_e32 v3, 0x800, v2
	v_cmp_eq_u32_e32 vcc, s6, v28
	v_add_u32_e32 v6, 0x1400, v2
	v_add_u32_e32 v7, 0x1e00, v2
	;; [unrolled: 1-line block ×3, first 2 shown]
	s_waitcnt vmcnt(7)
	ds_write2_b64 v3, v[12:13], v[4:5] offset0:82 offset1:251
	s_waitcnt vmcnt(6)
	ds_write2_b64 v2, v[10:11], v[14:15] offset1:169
	s_waitcnt vmcnt(4)
	ds_write2_b64 v6, v[16:17], v[18:19] offset0:36 offset1:205
	s_waitcnt vmcnt(2)
	ds_write2_b64 v7, v[20:21], v[22:23] offset0:54 offset1:223
	;; [unrolled: 2-line block ×3, first 2 shown]
	s_and_saveexec_b64 s[6:7], vcc
	s_cbranch_execz .LBB0_12
; %bb.11:
	v_add_co_u32_e32 v1, vcc, 0x3000, v1
	v_addc_co_u32_e32 v2, vcc, 0, v0, vcc
	global_load_dwordx2 v[0:1], v[1:2], off offset:1232
	v_mov_b32_e32 v28, 0xa8
	s_waitcnt vmcnt(0)
	ds_write_b64 v29, v[0:1] offset:13520
.LBB0_12:
	s_or_b64 exec, exec, s[6:7]
.LBB0_13:
	s_or_b64 exec, exec, s[4:5]
	v_lshlrev_b32_e32 v0, 3, v28
	v_add_u32_e32 v36, 0, v0
	s_waitcnt lgkmcnt(0)
	s_barrier
	v_sub_u32_e32 v4, 0, v0
	ds_read_b32 v5, v36
	ds_read_b32 v6, v4 offset:13520
	s_add_u32 s6, s8, 0x3468
	s_addc_u32 s7, s9, 0
	v_cmp_ne_u32_e32 vcc, 0, v28
                                        ; implicit-def: $vgpr2_vgpr3
	s_waitcnt lgkmcnt(0)
	v_add_f32_e32 v0, v6, v5
	v_sub_f32_e32 v1, v5, v6
	s_and_saveexec_b64 s[4:5], vcc
	s_xor_b64 s[4:5], exec, s[4:5]
	s_cbranch_execz .LBB0_15
; %bb.14:
	v_mov_b32_e32 v29, 0
	v_lshlrev_b64 v[0:1], 3, v[28:29]
	v_mov_b32_e32 v2, s7
	v_add_co_u32_e32 v0, vcc, s6, v0
	v_addc_co_u32_e32 v1, vcc, v2, v1, vcc
	global_load_dwordx2 v[2:3], v[0:1], off
	ds_read_b32 v0, v4 offset:13524
	ds_read_b32 v1, v36 offset:4
	v_add_f32_e32 v7, v6, v5
	v_sub_f32_e32 v8, v5, v6
	s_waitcnt lgkmcnt(0)
	v_add_f32_e32 v9, v0, v1
	v_sub_f32_e32 v0, v1, v0
	s_waitcnt vmcnt(0)
	v_fma_f32 v10, v8, v3, v7
	v_fma_f32 v1, v9, v3, v0
	v_fma_f32 v5, -v8, v3, v7
	v_fma_f32 v6, v9, v3, -v0
	v_fma_f32 v0, -v2, v9, v10
	v_fmac_f32_e32 v1, v8, v2
	v_fmac_f32_e32 v5, v2, v9
	;; [unrolled: 1-line block ×3, first 2 shown]
	v_mov_b32_e32 v2, v28
	ds_write_b64 v4, v[5:6] offset:13520
	v_mov_b32_e32 v3, v29
.LBB0_15:
	s_andn2_saveexec_b64 s[4:5], s[4:5]
	s_cbranch_execz .LBB0_17
; %bb.16:
	v_mov_b32_e32 v7, 0
	ds_read_b64 v[2:3], v7 offset:6760
	s_waitcnt lgkmcnt(0)
	v_add_f32_e32 v5, v2, v2
	v_mul_f32_e32 v6, -2.0, v3
	v_mov_b32_e32 v2, 0
	v_mov_b32_e32 v3, 0
	ds_write_b64 v7, v[5:6] offset:6760
.LBB0_17:
	s_or_b64 exec, exec, s[4:5]
	v_lshlrev_b64 v[2:3], 3, v[2:3]
	v_mov_b32_e32 v5, s7
	v_add_co_u32_e32 v2, vcc, s6, v2
	v_addc_co_u32_e32 v3, vcc, v5, v3, vcc
	global_load_dwordx2 v[5:6], v[2:3], off offset:1352
	global_load_dwordx2 v[7:8], v[2:3], off offset:2704
	;; [unrolled: 1-line block ×3, first 2 shown]
	s_movk_i32 s4, 0x1000
	v_add_co_u32_e32 v2, vcc, s4, v2
	v_addc_co_u32_e32 v3, vcc, 0, v3, vcc
	global_load_dwordx2 v[2:3], v[2:3], off offset:1312
	ds_write_b64 v36, v[0:1]
	ds_read_b64 v[0:1], v36 offset:1352
	ds_read_b64 v[11:12], v4 offset:12168
	v_add_u32_e32 v29, 0x800, v36
	v_add_u32_e32 v37, 0x2800, v36
	s_mov_b32 s6, 0x3f62ad3f
	s_mov_b32 s7, 0x3f116cb1
	s_waitcnt lgkmcnt(0)
	v_add_f32_e32 v13, v0, v11
	v_add_f32_e32 v14, v12, v1
	v_sub_f32_e32 v15, v0, v11
	v_sub_f32_e32 v0, v1, v12
	s_mov_b32 s10, 0x3df6dbef
	s_mov_b32 s11, 0xbeb58ec6
	s_mov_b32 s12, 0xbf3f9e67
	s_mov_b32 s13, 0xbf788fa5
	s_movk_i32 s4, 0x82
	v_cmp_gt_u32_e32 vcc, s4, v28
	s_waitcnt vmcnt(3)
	v_fma_f32 v16, v15, v6, v13
	v_fma_f32 v1, v14, v6, v0
	v_fma_f32 v11, -v15, v6, v13
	v_fma_f32 v12, v14, v6, -v0
	v_fma_f32 v0, -v5, v14, v16
	v_fmac_f32_e32 v1, v15, v5
	v_fmac_f32_e32 v11, v5, v14
	v_fmac_f32_e32 v12, v15, v5
	ds_write_b64 v36, v[0:1] offset:1352
	ds_write_b64 v4, v[11:12] offset:12168
	ds_read_b64 v[0:1], v36 offset:2704
	ds_read_b64 v[5:6], v4 offset:10816
	s_waitcnt lgkmcnt(0)
	v_add_f32_e32 v11, v0, v5
	v_add_f32_e32 v12, v6, v1
	v_sub_f32_e32 v13, v0, v5
	v_sub_f32_e32 v0, v1, v6
	s_waitcnt vmcnt(2)
	v_fma_f32 v14, v13, v8, v11
	v_fma_f32 v1, v12, v8, v0
	v_fma_f32 v5, -v13, v8, v11
	v_fma_f32 v6, v12, v8, -v0
	v_fma_f32 v0, -v7, v12, v14
	v_fmac_f32_e32 v1, v13, v7
	v_fmac_f32_e32 v5, v7, v12
	v_fmac_f32_e32 v6, v13, v7
	ds_write_b64 v36, v[0:1] offset:2704
	ds_write_b64 v4, v[5:6] offset:10816
	ds_read_b64 v[0:1], v36 offset:4056
	ds_read_b64 v[5:6], v4 offset:9464
	s_waitcnt lgkmcnt(0)
	v_add_f32_e32 v7, v0, v5
	v_add_f32_e32 v8, v6, v1
	v_sub_f32_e32 v11, v0, v5
	v_sub_f32_e32 v0, v1, v6
	;; [unrolled: 18-line block ×3, first 2 shown]
	s_waitcnt vmcnt(0)
	v_fma_f32 v10, v9, v3, v7
	v_fma_f32 v1, v8, v3, v0
	v_fma_f32 v5, -v9, v3, v7
	v_fma_f32 v6, v8, v3, -v0
	v_fma_f32 v0, -v2, v8, v10
	v_fmac_f32_e32 v1, v9, v2
	v_fmac_f32_e32 v5, v2, v8
	;; [unrolled: 1-line block ×3, first 2 shown]
	ds_write_b64 v36, v[0:1] offset:5408
	ds_write_b64 v4, v[5:6] offset:8112
	s_waitcnt lgkmcnt(0)
	s_barrier
	s_barrier
	ds_read2_b64 v[4:7], v36 offset1:130
	ds_read_b64 v[34:35], v36 offset:12480
	ds_read2_b64 v[12:15], v29 offset0:4 offset1:134
	ds_read2_b64 v[8:11], v37 offset0:20 offset1:150
	s_waitcnt lgkmcnt(2)
	v_sub_f32_e32 v62, v7, v35
	v_add_f32_e32 v66, v35, v7
	v_add_f32_e32 v38, v34, v6
	s_waitcnt lgkmcnt(0)
	v_sub_f32_e32 v61, v13, v11
	v_add_f32_e32 v65, v11, v13
	v_mul_f32_e32 v50, 0xbeedf032, v62
	v_mul_f32_e32 v54, 0x3f62ad3f, v66
	v_add_f32_e32 v39, v10, v12
	v_sub_f32_e32 v42, v6, v34
	v_sub_f32_e32 v64, v15, v9
	v_mul_f32_e32 v49, 0xbf52af12, v61
	v_mul_f32_e32 v53, 0x3f116cb1, v65
	v_fma_f32 v0, v38, s6, -v50
	v_mov_b32_e32 v2, v54
	v_sub_f32_e32 v41, v12, v10
	v_add_f32_e32 v40, v8, v14
	v_mul_f32_e32 v51, 0xbf7e222b, v64
	v_fma_f32 v1, v39, s7, -v49
	v_mov_b32_e32 v3, v53
	v_add_f32_e32 v0, v4, v0
	v_fmac_f32_e32 v2, 0xbeedf032, v42
	v_fma_f32 v16, v40, s10, -v51
	v_fmac_f32_e32 v3, 0xbf52af12, v41
	v_add_f32_e32 v0, v1, v0
	v_add_f32_e32 v1, v5, v2
	v_add_u32_e32 v2, 0x1000, v36
	v_add_f32_e32 v1, v3, v1
	v_add_f32_e32 v0, v16, v0
	v_add_u32_e32 v3, 0x2000, v36
	ds_read2_b64 v[20:23], v2 offset0:8 offset1:138
	ds_read2_b64 v[16:19], v3 offset0:16 offset1:146
	v_add_f32_e32 v68, v9, v15
	v_mul_f32_e32 v55, 0x3df6dbef, v68
	v_sub_f32_e32 v43, v14, v8
	v_mov_b32_e32 v2, v55
	s_waitcnt lgkmcnt(0)
	v_sub_f32_e32 v74, v21, v19
	v_fmac_f32_e32 v2, 0xbf7e222b, v43
	v_add_f32_e32 v44, v18, v20
	v_mul_f32_e32 v56, 0xbf6f5d39, v74
	v_add_f32_e32 v82, v19, v21
	v_add_f32_e32 v1, v2, v1
	v_fma_f32 v2, v44, s11, -v56
	v_mul_f32_e32 v57, 0xbeb58ec6, v82
	v_add_f32_e32 v0, v2, v0
	v_sub_f32_e32 v45, v20, v18
	v_mov_b32_e32 v2, v57
	v_sub_f32_e32 v81, v23, v17
	v_fmac_f32_e32 v2, 0xbf6f5d39, v45
	v_add_f32_e32 v46, v16, v22
	v_mul_f32_e32 v58, 0xbf29c268, v81
	v_add_f32_e32 v1, v2, v1
	v_fma_f32 v2, v46, s12, -v58
	v_add_f32_e32 v0, v2, v0
	v_add_u32_e32 v2, 0x1800, v36
	ds_read2_b64 v[24:27], v2 offset0:12 offset1:142
	v_add_f32_e32 v84, v17, v23
	v_mul_f32_e32 v59, 0xbf3f9e67, v84
	v_sub_f32_e32 v47, v22, v16
	v_mov_b32_e32 v2, v59
	s_waitcnt lgkmcnt(0)
	v_sub_f32_e32 v83, v25, v27
	v_fmac_f32_e32 v2, 0xbf29c268, v47
	v_add_f32_e32 v48, v26, v24
	v_mul_f32_e32 v60, 0xbe750f2a, v83
	v_add_f32_e32 v85, v27, v25
	v_add_f32_e32 v1, v2, v1
	v_fma_f32 v2, v48, s13, -v60
	v_mul_f32_e32 v63, 0xbf788fa5, v85
	v_add_f32_e32 v32, v2, v0
	v_sub_f32_e32 v52, v24, v26
	v_mov_b32_e32 v0, v63
	v_fmac_f32_e32 v0, 0xbe750f2a, v52
	v_mul_f32_e32 v69, 0xbf52af12, v62
	v_add_f32_e32 v33, v0, v1
	v_fma_f32 v0, v38, s7, -v69
	v_mul_f32_e32 v67, 0xbf6f5d39, v61
	v_add_f32_e32 v0, v4, v0
	v_fma_f32 v1, v39, s11, -v67
	v_mul_f32_e32 v75, 0x3f116cb1, v66
	v_add_f32_e32 v0, v1, v0
	v_mov_b32_e32 v1, v75
	v_mul_f32_e32 v76, 0xbeb58ec6, v65
	v_fmac_f32_e32 v1, 0xbf52af12, v42
	v_mov_b32_e32 v2, v76
	v_add_f32_e32 v1, v5, v1
	v_fmac_f32_e32 v2, 0xbf6f5d39, v41
	v_mul_f32_e32 v70, 0xbe750f2a, v64
	v_add_f32_e32 v1, v2, v1
	v_fma_f32 v2, v40, s13, -v70
	v_mul_f32_e32 v77, 0xbf788fa5, v68
	v_add_f32_e32 v0, v2, v0
	v_mov_b32_e32 v2, v77
	v_fmac_f32_e32 v2, 0xbe750f2a, v43
	v_mul_f32_e32 v71, 0x3f29c268, v74
	v_add_f32_e32 v1, v2, v1
	v_fma_f32 v2, v44, s12, -v71
	v_mul_f32_e32 v78, 0xbf3f9e67, v82
	v_add_f32_e32 v0, v2, v0
	v_mov_b32_e32 v2, v78
	;; [unrolled: 7-line block ×3, first 2 shown]
	v_fmac_f32_e32 v2, 0x3f7e222b, v47
	v_mul_f32_e32 v80, 0x3f62ad3f, v85
	v_mul_f32_e32 v73, 0x3eedf032, v83
	v_add_f32_e32 v1, v2, v1
	v_mov_b32_e32 v3, v80
	v_fma_f32 v2, v48, s6, -v73
	v_mul_f32_e32 v90, 0xbf7e222b, v62
	v_fmac_f32_e32 v3, 0x3eedf032, v52
	v_add_f32_e32 v2, v2, v0
	v_fma_f32 v0, v38, s10, -v90
	v_mul_f32_e32 v91, 0xbe750f2a, v61
	v_add_f32_e32 v3, v3, v1
	v_add_f32_e32 v0, v4, v0
	v_fma_f32 v1, v39, s13, -v91
	v_mul_f32_e32 v89, 0x3f6f5d39, v64
	v_add_f32_e32 v0, v1, v0
	v_fma_f32 v1, v40, s11, -v89
	v_mul_f32_e32 v88, 0x3eedf032, v74
	;; [unrolled: 3-line block ×5, first 2 shown]
	v_add_f32_e32 v0, v1, v0
	v_mov_b32_e32 v1, v92
	v_mul_f32_e32 v93, 0xbf788fa5, v65
	v_fmac_f32_e32 v1, 0xbf7e222b, v42
	v_mov_b32_e32 v94, v93
	v_add_f32_e32 v1, v5, v1
	v_fmac_f32_e32 v94, 0xbe750f2a, v41
	v_add_f32_e32 v1, v94, v1
	v_mul_f32_e32 v94, 0xbeb58ec6, v68
	v_mov_b32_e32 v95, v94
	v_fmac_f32_e32 v95, 0x3f6f5d39, v43
	v_add_f32_e32 v1, v95, v1
	v_mul_f32_e32 v95, 0x3f62ad3f, v82
	v_mov_b32_e32 v96, v95
	;; [unrolled: 4-line block ×4, first 2 shown]
	v_fmac_f32_e32 v98, 0xbf29c268, v52
	v_add_f32_e32 v1, v98, v1
	s_barrier
	s_and_saveexec_b64 s[4:5], vcc
	s_cbranch_execz .LBB0_19
; %bb.18:
	v_mul_f32_e32 v102, 0xbf788fa5, v66
	v_mov_b32_e32 v98, v102
	v_mul_f32_e32 v103, 0x3f62ad3f, v65
	v_fmac_f32_e32 v98, 0x3e750f2a, v42
	v_mov_b32_e32 v99, v103
	v_add_f32_e32 v98, v5, v98
	v_fmac_f32_e32 v99, 0xbeedf032, v41
	v_mul_f32_e32 v104, 0xbf3f9e67, v68
	v_add_f32_e32 v98, v99, v98
	v_mov_b32_e32 v99, v104
	v_fmac_f32_e32 v99, 0x3f29c268, v43
	v_mul_f32_e32 v105, 0x3f116cb1, v82
	v_add_f32_e32 v98, v99, v98
	v_mov_b32_e32 v99, v105
	;; [unrolled: 4-line block ×5, first 2 shown]
	v_mul_f32_e32 v109, 0x3eedf032, v61
	v_fmac_f32_e32 v98, 0xbf788fa5, v38
	v_mov_b32_e32 v100, v109
	v_add_f32_e32 v98, v4, v98
	v_fmac_f32_e32 v100, 0x3f62ad3f, v39
	v_mul_f32_e32 v110, 0xbf29c268, v64
	v_add_f32_e32 v98, v100, v98
	v_mov_b32_e32 v100, v110
	v_fmac_f32_e32 v100, 0xbf3f9e67, v40
	v_mul_f32_e32 v111, 0x3f52af12, v74
	v_add_f32_e32 v98, v100, v98
	v_mov_b32_e32 v100, v111
	;; [unrolled: 4-line block ×5, first 2 shown]
	v_mul_f32_e32 v115, 0x3df6dbef, v65
	v_fmac_f32_e32 v100, 0x3f29c268, v42
	v_mov_b32_e32 v101, v115
	v_add_f32_e32 v100, v5, v100
	v_fmac_f32_e32 v101, 0xbf7e222b, v41
	v_mul_f32_e32 v116, 0x3f116cb1, v68
	v_add_f32_e32 v100, v101, v100
	v_mov_b32_e32 v101, v116
	v_fmac_f32_e32 v101, 0x3f52af12, v43
	v_mul_f32_e32 v117, 0xbf788fa5, v82
	v_add_f32_e32 v100, v101, v100
	v_mov_b32_e32 v101, v117
	;; [unrolled: 4-line block ×4, first 2 shown]
	v_mul_f32_e32 v120, 0x3f7e222b, v61
	v_fmac_f32_e32 v101, 0xbf3f9e67, v38
	v_mov_b32_e32 v121, v120
	v_add_f32_e32 v101, v4, v101
	v_fmac_f32_e32 v121, 0x3df6dbef, v39
	v_add_f32_e32 v101, v121, v101
	v_mul_f32_e32 v121, 0xbf52af12, v64
	v_mov_b32_e32 v122, v121
	v_fmac_f32_e32 v122, 0x3f116cb1, v40
	v_add_f32_e32 v101, v122, v101
	v_mul_f32_e32 v122, 0x3e750f2a, v74
	v_mov_b32_e32 v123, v122
	;; [unrolled: 4-line block ×3, first 2 shown]
	v_fmac_f32_e32 v124, 0x3f62ad3f, v46
	v_mul_f32_e32 v125, 0xbeb58ec6, v85
	v_add_f32_e32 v124, v124, v101
	v_mov_b32_e32 v101, v125
	v_fmac_f32_e32 v101, 0x3f6f5d39, v52
	v_mul_f32_e32 v126, 0xbf6f5d39, v83
	v_add_f32_e32 v101, v101, v100
	v_mov_b32_e32 v100, v126
	v_fmac_f32_e32 v100, 0xbeb58ec6, v48
	v_mul_f32_e32 v128, 0xbf6f5d39, v62
	v_add_f32_e32 v100, v100, v124
	v_mul_f32_e32 v124, 0xbeb58ec6, v66
	v_mov_b32_e32 v62, v128
	v_mul_f32_e32 v129, 0x3f29c268, v61
	v_mov_b32_e32 v66, v124
	v_mul_f32_e32 v127, 0xbf3f9e67, v65
	v_fmac_f32_e32 v62, 0xbeb58ec6, v38
	v_mov_b32_e32 v61, v129
	v_fmac_f32_e32 v66, 0x3f6f5d39, v42
	v_mov_b32_e32 v65, v127
	v_add_f32_e32 v62, v4, v62
	v_fmac_f32_e32 v61, 0xbf3f9e67, v39
	v_mul_f32_e32 v130, 0x3eedf032, v64
	v_add_f32_e32 v66, v5, v66
	v_fmac_f32_e32 v65, 0xbf29c268, v41
	v_mul_f32_e32 v68, 0x3f62ad3f, v68
	v_add_f32_e32 v61, v61, v62
	v_mov_b32_e32 v62, v130
	v_add_f32_e32 v65, v65, v66
	v_mov_b32_e32 v66, v68
	v_fmac_f32_e32 v62, 0x3f62ad3f, v40
	v_mul_f32_e32 v74, 0xbf7e222b, v74
	v_fmac_f32_e32 v66, 0xbeedf032, v43
	v_mul_f32_e32 v82, 0x3df6dbef, v82
	v_add_f32_e32 v61, v62, v61
	v_mov_b32_e32 v62, v74
	v_add_f32_e32 v65, v66, v65
	v_mov_b32_e32 v66, v82
	v_fmac_f32_e32 v62, 0x3df6dbef, v44
	v_mul_f32_e32 v81, 0x3e750f2a, v81
	v_add_f32_e32 v6, v4, v6
	v_fmac_f32_e32 v66, 0x3f7e222b, v45
	v_mul_f32_e32 v84, 0xbf788fa5, v84
	v_add_f32_e32 v61, v62, v61
	v_mov_b32_e32 v62, v81
	v_mul_f32_e32 v83, 0x3f52af12, v83
	v_add_f32_e32 v6, v6, v12
	v_add_f32_e32 v65, v66, v65
	v_mov_b32_e32 v66, v84
	v_fmac_f32_e32 v62, 0xbf788fa5, v46
	v_mul_f32_e32 v85, 0x3f116cb1, v85
	v_mov_b32_e32 v64, v83
	v_add_f32_e32 v6, v6, v14
	v_fmac_f32_e32 v66, 0xbe750f2a, v47
	v_add_f32_e32 v61, v62, v61
	v_mov_b32_e32 v62, v85
	v_fmac_f32_e32 v64, 0x3f116cb1, v48
	v_add_f32_e32 v6, v6, v20
	v_add_f32_e32 v65, v66, v65
	v_fmac_f32_e32 v62, 0xbf52af12, v52
	v_add_f32_e32 v61, v64, v61
	v_mul_f32_e32 v64, 0xbf7e222b, v42
	v_mul_f32_e32 v66, 0x3df6dbef, v38
	v_add_f32_e32 v6, v6, v22
	v_add_f32_e32 v62, v62, v65
	v_sub_f32_e32 v64, v92, v64
	v_mul_f32_e32 v65, 0xbe750f2a, v41
	v_add_f32_e32 v66, v66, v90
	v_mul_f32_e32 v90, 0xbf788fa5, v39
	v_add_f32_e32 v7, v5, v7
	v_add_f32_e32 v6, v6, v24
	v_sub_f32_e32 v65, v93, v65
	v_add_f32_e32 v64, v5, v64
	v_add_f32_e32 v90, v90, v91
	;; [unrolled: 1-line block ×6, first 2 shown]
	v_mul_f32_e32 v65, 0x3f6f5d39, v43
	v_add_f32_e32 v66, v90, v66
	v_mul_f32_e32 v90, 0xbeb58ec6, v40
	v_add_f32_e32 v7, v7, v15
	v_add_f32_e32 v6, v6, v16
	v_sub_f32_e32 v65, v94, v65
	v_add_f32_e32 v89, v90, v89
	v_add_f32_e32 v7, v7, v21
	;; [unrolled: 1-line block ×3, first 2 shown]
	v_fmac_f32_e32 v102, 0xbe750f2a, v42
	v_add_f32_e32 v64, v65, v64
	v_mul_f32_e32 v65, 0x3eedf032, v45
	v_add_f32_e32 v66, v89, v66
	v_mul_f32_e32 v89, 0x3f62ad3f, v44
	v_add_f32_e32 v7, v7, v23
	v_add_f32_e32 v6, v6, v8
	;; [unrolled: 1-line block ×3, first 2 shown]
	v_fmac_f32_e32 v103, 0x3eedf032, v41
	v_sub_f32_e32 v65, v95, v65
	v_add_f32_e32 v88, v89, v88
	v_add_f32_e32 v7, v7, v25
	;; [unrolled: 1-line block ×3, first 2 shown]
	v_fmac_f32_e32 v104, 0xbf29c268, v43
	v_add_f32_e32 v64, v65, v64
	v_mul_f32_e32 v65, 0xbf52af12, v47
	v_add_f32_e32 v66, v88, v66
	v_mul_f32_e32 v88, 0x3f116cb1, v46
	v_add_f32_e32 v7, v7, v27
	v_add_f32_e32 v8, v104, v8
	v_fmac_f32_e32 v105, 0x3f52af12, v45
	v_sub_f32_e32 v65, v96, v65
	v_add_f32_e32 v87, v88, v87
	v_add_f32_e32 v7, v7, v17
	;; [unrolled: 1-line block ×3, first 2 shown]
	v_fmac_f32_e32 v106, 0xbf6f5d39, v47
	v_add_f32_e32 v64, v65, v64
	v_mul_f32_e32 v65, 0xbf29c268, v52
	v_add_f32_e32 v66, v87, v66
	v_mul_f32_e32 v87, 0xbf3f9e67, v48
	v_add_f32_e32 v7, v7, v19
	v_add_f32_e32 v8, v106, v8
	v_fmac_f32_e32 v107, 0x3f7e222b, v52
	v_sub_f32_e32 v65, v97, v65
	v_add_f32_e32 v86, v87, v86
	v_add_f32_e32 v7, v7, v9
	;; [unrolled: 1-line block ×3, first 2 shown]
	v_fma_f32 v8, v38, s13, -v108
	v_add_f32_e32 v65, v65, v64
	v_add_f32_e32 v64, v86, v66
	v_mul_f32_e32 v66, 0xbf52af12, v42
	v_add_f32_e32 v6, v6, v10
	v_add_f32_e32 v8, v4, v8
	v_fma_f32 v10, v39, s6, -v109
	v_sub_f32_e32 v66, v75, v66
	v_mul_f32_e32 v75, 0xbf6f5d39, v41
	v_add_f32_e32 v8, v10, v8
	v_fma_f32 v10, v40, s12, -v110
	v_sub_f32_e32 v75, v76, v75
	v_add_f32_e32 v66, v5, v66
	v_add_f32_e32 v8, v10, v8
	v_fma_f32 v10, v44, s7, -v111
	v_add_f32_e32 v66, v75, v66
	v_mul_f32_e32 v75, 0xbe750f2a, v43
	v_add_f32_e32 v8, v10, v8
	v_fma_f32 v10, v46, s11, -v112
	v_sub_f32_e32 v75, v77, v75
	v_add_f32_e32 v8, v10, v8
	v_fma_f32 v10, v48, s10, -v113
	v_fmac_f32_e32 v114, 0xbf29c268, v42
	v_add_f32_e32 v66, v75, v66
	v_mul_f32_e32 v75, 0x3f29c268, v45
	v_add_f32_e32 v8, v10, v8
	v_add_f32_e32 v10, v5, v114
	v_fmac_f32_e32 v115, 0x3f7e222b, v41
	v_sub_f32_e32 v75, v78, v75
	v_add_f32_e32 v10, v115, v10
	v_fmac_f32_e32 v116, 0xbf52af12, v43
	v_add_f32_e32 v66, v75, v66
	v_mul_f32_e32 v75, 0x3f7e222b, v47
	v_add_f32_e32 v10, v116, v10
	v_fmac_f32_e32 v117, 0x3e750f2a, v45
	v_sub_f32_e32 v75, v79, v75
	v_add_f32_e32 v10, v117, v10
	v_fmac_f32_e32 v118, 0x3eedf032, v47
	v_mul_f32_e32 v77, 0x3f116cb1, v38
	v_add_f32_e32 v66, v75, v66
	v_mul_f32_e32 v75, 0x3eedf032, v52
	v_add_f32_e32 v10, v118, v10
	v_fmac_f32_e32 v125, 0xbf6f5d39, v52
	v_sub_f32_e32 v75, v80, v75
	v_mul_f32_e32 v80, 0xbeb58ec6, v39
	v_add_f32_e32 v69, v77, v69
	v_add_f32_e32 v7, v7, v11
	;; [unrolled: 1-line block ×3, first 2 shown]
	v_fma_f32 v10, v38, s12, -v119
	v_add_f32_e32 v67, v80, v67
	v_add_f32_e32 v69, v4, v69
	;; [unrolled: 1-line block ×3, first 2 shown]
	v_fma_f32 v12, v39, s10, -v120
	v_add_f32_e32 v67, v67, v69
	v_mul_f32_e32 v69, 0xbf788fa5, v40
	v_add_f32_e32 v10, v12, v10
	v_fma_f32 v12, v40, s7, -v121
	v_add_f32_e32 v69, v69, v70
	v_add_f32_e32 v10, v12, v10
	v_fma_f32 v12, v44, s13, -v122
	v_add_f32_e32 v67, v69, v67
	v_mul_f32_e32 v69, 0xbf3f9e67, v44
	v_add_f32_e32 v10, v12, v10
	v_fma_f32 v12, v46, s6, -v123
	v_mul_f32_e32 v86, 0x3f62ad3f, v38
	v_mul_f32_e32 v76, 0xbeedf032, v42
	v_add_f32_e32 v69, v69, v71
	v_add_f32_e32 v10, v12, v10
	v_fma_f32 v12, v48, s11, -v126
	v_mul_f32_e32 v78, 0x3f116cb1, v39
	v_mul_f32_e32 v79, 0xbf52af12, v41
	v_add_f32_e32 v67, v69, v67
	v_mul_f32_e32 v69, 0x3df6dbef, v46
	v_sub_f32_e32 v54, v54, v76
	v_add_f32_e32 v50, v86, v50
	v_add_f32_e32 v10, v12, v10
	v_fma_f32 v12, v38, s11, -v128
	v_mul_f32_e32 v77, 0x3df6dbef, v40
	v_mul_f32_e32 v80, 0xbf7e222b, v43
	v_add_f32_e32 v69, v69, v72
	v_add_f32_e32 v54, v5, v54
	v_sub_f32_e32 v53, v53, v79
	v_add_f32_e32 v50, v4, v50
	v_add_f32_e32 v49, v78, v49
	v_fmac_f32_e32 v124, 0xbf6f5d39, v42
	v_add_f32_e32 v4, v4, v12
	v_fma_f32 v12, v39, s12, -v129
	v_mul_f32_e32 v70, 0xbeb58ec6, v44
	v_mul_f32_e32 v71, 0xbf6f5d39, v45
	v_add_f32_e32 v69, v69, v67
	v_mul_f32_e32 v67, 0x3f62ad3f, v48
	v_add_f32_e32 v53, v53, v54
	v_sub_f32_e32 v54, v55, v80
	v_add_f32_e32 v49, v49, v50
	v_add_f32_e32 v50, v77, v51
	;; [unrolled: 1-line block ×3, first 2 shown]
	v_fmac_f32_e32 v127, 0x3f29c268, v41
	v_add_f32_e32 v4, v12, v4
	v_fma_f32 v12, v40, s6, -v130
	v_mul_f32_e32 v72, 0xbf3f9e67, v46
	v_add_f32_e32 v73, v67, v73
	v_mul_f32_e32 v87, 0xbf29c268, v47
	v_add_f32_e32 v53, v54, v53
	v_sub_f32_e32 v54, v57, v71
	v_add_f32_e32 v49, v50, v49
	v_add_f32_e32 v50, v70, v56
	v_add_f32_e32 v5, v127, v5
	v_fmac_f32_e32 v68, 0x3eedf032, v43
	v_add_f32_e32 v4, v12, v4
	v_fma_f32 v12, v44, s10, -v74
	v_add_f32_e32 v67, v75, v66
	v_add_f32_e32 v66, v73, v69
	v_mul_f32_e32 v69, 0xbf788fa5, v48
	v_mul_f32_e32 v73, 0xbe750f2a, v52
	v_add_f32_e32 v53, v54, v53
	v_sub_f32_e32 v54, v59, v87
	v_add_f32_e32 v49, v50, v49
	v_add_f32_e32 v50, v72, v58
	;; [unrolled: 1-line block ×3, first 2 shown]
	v_fmac_f32_e32 v82, 0xbf7e222b, v45
	v_add_f32_e32 v4, v12, v4
	v_fma_f32 v12, v46, s13, -v81
	v_add_f32_e32 v53, v54, v53
	v_sub_f32_e32 v54, v63, v73
	v_add_f32_e32 v49, v50, v49
	v_add_f32_e32 v50, v69, v60
	v_add_f32_e32 v5, v82, v5
	v_fmac_f32_e32 v84, 0x3e750f2a, v47
	v_add_f32_e32 v4, v12, v4
	v_fma_f32 v12, v48, s7, -v83
	s_movk_i32 s6, 0x60
	v_add_f32_e32 v54, v54, v53
	v_add_f32_e32 v53, v50, v49
	v_add_f32_e32 v7, v7, v35
	v_add_f32_e32 v6, v6, v34
	v_add_f32_e32 v5, v84, v5
	v_fmac_f32_e32 v85, 0x3f52af12, v52
	v_add_f32_e32 v4, v12, v4
	v_mad_u32_u24 v12, v28, s6, v36
	v_add_f32_e32 v5, v85, v5
	ds_write2_b64 v12, v[6:7], v[53:54] offset1:1
	ds_write2_b64 v12, v[66:67], v[64:65] offset0:2 offset1:3
	ds_write2_b64 v12, v[61:62], v[100:101] offset0:4 offset1:5
	;; [unrolled: 1-line block ×5, first 2 shown]
	ds_write_b64 v12, v[32:33] offset:96
.LBB0_19:
	s_or_b64 exec, exec, s[4:5]
	s_movk_i32 s4, 0x4f
	v_mul_lo_u16_sdwa v4, v28, s4 dst_sel:DWORD dst_unused:UNUSED_PAD src0_sel:BYTE_0 src1_sel:DWORD
	v_lshrrev_b16_e32 v49, 10, v4
	v_mul_lo_u16_e32 v4, 13, v49
	v_sub_u16_e32 v50, v28, v4
	v_mov_b32_e32 v4, 9
	v_mul_u32_u24_sdwa v4, v50, v4 dst_sel:DWORD dst_unused:UNUSED_PAD src0_sel:BYTE_0 src1_sel:DWORD
	v_lshlrev_b32_e32 v20, 3, v4
	s_waitcnt lgkmcnt(0)
	s_barrier
	global_load_dwordx4 v[4:7], v20, s[8:9]
	global_load_dwordx4 v[8:11], v20, s[8:9] offset:16
	global_load_dwordx4 v[12:15], v20, s[8:9] offset:32
	global_load_dwordx4 v[16:19], v20, s[8:9] offset:48
	global_load_dwordx2 v[34:35], v20, s[8:9] offset:64
	v_add_u32_e32 v45, 0x1e00, v36
	ds_read2_b64 v[20:23], v36 offset1:169
	ds_read2_b64 v[24:27], v29 offset0:82 offset1:251
	v_add_u32_e32 v29, 0x1400, v36
	ds_read2_b64 v[37:40], v37 offset0:72 offset1:241
	ds_read2_b64 v[41:44], v29 offset0:36 offset1:205
	;; [unrolled: 1-line block ×3, first 2 shown]
	s_waitcnt vmcnt(0) lgkmcnt(0)
	s_barrier
	v_mul_f32_e32 v29, v5, v23
	v_mul_f32_e32 v53, v11, v42
	;; [unrolled: 1-line block ×9, first 2 shown]
	v_fmac_f32_e32 v53, v10, v41
	v_fmac_f32_e32 v55, v45, v14
	v_mul_f32_e32 v52, v9, v27
	v_mul_f32_e32 v9, v9, v26
	;; [unrolled: 1-line block ×7, first 2 shown]
	v_fmac_f32_e32 v29, v4, v22
	v_fma_f32 v22, v4, v23, -v5
	v_fmac_f32_e32 v51, v6, v24
	v_fma_f32 v4, v6, v25, -v7
	v_fma_f32 v7, v12, v44, -v13
	v_fmac_f32_e32 v57, v37, v18
	v_add_f32_e32 v13, v53, v55
	v_fmac_f32_e32 v52, v8, v26
	v_fma_f32 v5, v8, v27, -v9
	v_fma_f32 v6, v10, v42, -v11
	v_fmac_f32_e32 v54, v12, v43
	v_fma_f32 v8, v46, v14, -v15
	v_fmac_f32_e32 v56, v47, v16
	v_fma_f32 v9, v48, v16, -v17
	v_fma_f32 v10, v38, v18, -v19
	v_add_f32_e32 v12, v20, v51
	v_sub_f32_e32 v16, v51, v53
	v_sub_f32_e32 v17, v57, v55
	v_add_f32_e32 v18, v51, v57
	v_sub_f32_e32 v19, v53, v51
	v_sub_f32_e32 v23, v55, v57
	v_fma_f32 v26, -0.5, v13, v20
	v_sub_f32_e32 v14, v4, v10
	v_add_f32_e32 v24, v21, v4
	v_add_f32_e32 v25, v6, v8
	;; [unrolled: 1-line block ×4, first 2 shown]
	v_fma_f32 v20, -0.5, v18, v20
	v_add_f32_e32 v16, v19, v23
	v_mov_b32_e32 v19, v26
	v_sub_f32_e32 v15, v6, v8
	v_add_f32_e32 v17, v24, v6
	v_fma_f32 v23, -0.5, v25, v21
	v_add_f32_e32 v12, v12, v55
	v_fmac_f32_e32 v26, 0x3f737871, v14
	v_mov_b32_e32 v24, v20
	v_fmac_f32_e32 v19, 0xbf737871, v14
	v_fmac_f32_e32 v20, 0xbf737871, v15
	v_add_f32_e32 v18, v12, v57
	v_fmac_f32_e32 v26, 0x3f167918, v15
	v_fmac_f32_e32 v24, 0x3f737871, v15
	;; [unrolled: 1-line block ×3, first 2 shown]
	v_sub_f32_e32 v12, v51, v57
	v_mov_b32_e32 v27, v23
	v_fmac_f32_e32 v20, 0x3f167918, v14
	v_fmac_f32_e32 v26, 0x3e9e377a, v13
	;; [unrolled: 1-line block ×5, first 2 shown]
	v_sub_f32_e32 v13, v53, v55
	v_sub_f32_e32 v14, v4, v6
	;; [unrolled: 1-line block ×3, first 2 shown]
	v_fmac_f32_e32 v23, 0xbf737871, v12
	v_fmac_f32_e32 v27, 0x3f167918, v13
	v_add_f32_e32 v14, v14, v15
	v_fmac_f32_e32 v23, 0xbf167918, v13
	v_fmac_f32_e32 v27, 0x3e9e377a, v14
	;; [unrolled: 1-line block ×3, first 2 shown]
	v_add_f32_e32 v14, v4, v10
	v_mul_f32_e32 v58, v40, v35
	v_mul_f32_e32 v35, v39, v35
	v_fma_f32 v21, -0.5, v14, v21
	v_fmac_f32_e32 v58, v39, v34
	v_fma_f32 v11, v40, v34, -v35
	v_mov_b32_e32 v34, v21
	v_fmac_f32_e32 v34, 0xbf737871, v13
	v_sub_f32_e32 v4, v6, v4
	v_sub_f32_e32 v6, v8, v10
	v_fmac_f32_e32 v21, 0x3f737871, v13
	v_fmac_f32_e32 v34, 0x3f167918, v12
	v_add_f32_e32 v4, v4, v6
	v_fmac_f32_e32 v21, 0xbf167918, v12
	v_fmac_f32_e32 v34, 0x3e9e377a, v4
	;; [unrolled: 1-line block ×3, first 2 shown]
	v_add_f32_e32 v4, v29, v52
	v_add_f32_e32 v4, v4, v54
	;; [unrolled: 1-line block ×7, first 2 shown]
	v_fma_f32 v10, -0.5, v4, v29
	v_sub_f32_e32 v4, v5, v11
	v_mov_b32_e32 v13, v10
	v_fmac_f32_e32 v13, 0xbf737871, v4
	v_sub_f32_e32 v6, v7, v9
	v_sub_f32_e32 v12, v52, v54
	;; [unrolled: 1-line block ×3, first 2 shown]
	v_fmac_f32_e32 v10, 0x3f737871, v4
	v_fmac_f32_e32 v13, 0xbf167918, v6
	v_add_f32_e32 v12, v12, v14
	v_fmac_f32_e32 v10, 0x3f167918, v6
	v_fmac_f32_e32 v13, 0x3e9e377a, v12
	v_fmac_f32_e32 v10, 0x3e9e377a, v12
	v_add_f32_e32 v12, v52, v58
	v_fmac_f32_e32 v29, -0.5, v12
	v_mov_b32_e32 v15, v29
	v_fmac_f32_e32 v15, 0x3f737871, v6
	v_fmac_f32_e32 v29, 0xbf737871, v6
	;; [unrolled: 1-line block ×4, first 2 shown]
	v_add_f32_e32 v4, v22, v5
	v_add_f32_e32 v4, v4, v7
	;; [unrolled: 1-line block ×5, first 2 shown]
	v_sub_f32_e32 v12, v54, v52
	v_sub_f32_e32 v14, v56, v58
	v_fma_f32 v17, -0.5, v4, v22
	v_add_f32_e32 v12, v12, v14
	v_sub_f32_e32 v4, v52, v58
	v_mov_b32_e32 v37, v17
	v_fmac_f32_e32 v15, 0x3e9e377a, v12
	v_fmac_f32_e32 v29, 0x3e9e377a, v12
	;; [unrolled: 1-line block ×3, first 2 shown]
	v_sub_f32_e32 v6, v54, v56
	v_sub_f32_e32 v12, v5, v7
	v_sub_f32_e32 v14, v11, v9
	v_fmac_f32_e32 v17, 0xbf737871, v4
	v_fmac_f32_e32 v37, 0x3f167918, v6
	v_add_f32_e32 v12, v12, v14
	v_fmac_f32_e32 v17, 0xbf167918, v6
	v_fmac_f32_e32 v37, 0x3e9e377a, v12
	;; [unrolled: 1-line block ×3, first 2 shown]
	v_add_f32_e32 v12, v5, v11
	v_fmac_f32_e32 v22, -0.5, v12
	v_mov_b32_e32 v38, v22
	v_fmac_f32_e32 v38, 0xbf737871, v6
	v_sub_f32_e32 v5, v7, v5
	v_sub_f32_e32 v7, v9, v11
	v_fmac_f32_e32 v22, 0x3f737871, v6
	v_fmac_f32_e32 v38, 0x3f167918, v4
	v_add_f32_e32 v5, v5, v7
	v_fmac_f32_e32 v22, 0xbf167918, v4
	v_fmac_f32_e32 v38, 0x3e9e377a, v5
	;; [unrolled: 1-line block ×3, first 2 shown]
	v_mul_f32_e32 v9, 0xbf167918, v37
	v_fmac_f32_e32 v9, 0x3f4f1bbd, v13
	v_mul_f32_e32 v11, 0xbf737871, v38
	v_mul_f32_e32 v39, 0xbf737871, v22
	;; [unrolled: 1-line block ×3, first 2 shown]
	v_fmac_f32_e32 v24, 0x3e9e377a, v16
	v_add_f32_e32 v4, v18, v8
	v_add_f32_e32 v6, v19, v9
	v_fmac_f32_e32 v11, 0x3e9e377a, v15
	v_fmac_f32_e32 v39, 0xbe9e377a, v29
	v_mul_f32_e32 v40, 0xbf167918, v17
	v_add_f32_e32 v5, v25, v35
	v_mul_f32_e32 v37, 0x3f4f1bbd, v37
	v_mul_f32_e32 v38, 0x3e9e377a, v38
	v_fmac_f32_e32 v41, 0x3f737871, v29
	v_mul_f32_e32 v29, 0xbf4f1bbd, v17
	v_sub_f32_e32 v18, v18, v8
	v_sub_f32_e32 v8, v19, v9
	;; [unrolled: 1-line block ×3, first 2 shown]
	v_mov_b32_e32 v25, 3
	v_fmac_f32_e32 v20, 0x3e9e377a, v16
	v_add_f32_e32 v12, v24, v11
	v_fmac_f32_e32 v40, 0xbf4f1bbd, v10
	v_fmac_f32_e32 v37, 0x3f167918, v13
	;; [unrolled: 1-line block ×4, first 2 shown]
	v_sub_f32_e32 v10, v24, v11
	v_mul_u32_u24_e32 v24, 0x410, v49
	v_lshlrev_b32_sdwa v25, v25, v50 dst_sel:DWORD dst_unused:UNUSED_PAD src0_sel:DWORD src1_sel:BYTE_0
	v_add_f32_e32 v14, v20, v39
	v_add_f32_e32 v16, v26, v40
	v_add_f32_e32 v7, v27, v37
	v_add_f32_e32 v13, v34, v38
	v_add_f32_e32 v15, v21, v41
	v_add_f32_e32 v17, v23, v29
	v_sub_f32_e32 v20, v20, v39
	v_sub_f32_e32 v22, v26, v40
	;; [unrolled: 1-line block ×6, first 2 shown]
	v_add3_u32 v24, 0, v24, v25
	ds_write2_b64 v24, v[4:5], v[6:7] offset1:13
	ds_write2_b64 v24, v[12:13], v[14:15] offset0:26 offset1:39
	ds_write2_b64 v24, v[16:17], v[18:19] offset0:52 offset1:65
	;; [unrolled: 1-line block ×4, first 2 shown]
	s_waitcnt lgkmcnt(0)
	s_barrier
	s_and_saveexec_b64 s[4:5], vcc
	s_cbranch_execz .LBB0_21
; %bb.20:
	v_add_u32_e32 v0, 0x800, v36
	ds_read2_b64 v[12:15], v0 offset0:4 offset1:134
	v_add_u32_e32 v0, 0x1000, v36
	ds_read2_b64 v[16:19], v0 offset0:8 offset1:138
	;; [unrolled: 2-line block ×4, first 2 shown]
	v_add_u32_e32 v0, 0x2800, v36
	ds_read2_b64 v[4:7], v36 offset1:130
	ds_read2_b64 v[0:3], v0 offset0:20 offset1:150
	ds_read_b64 v[32:33], v36 offset:12480
.LBB0_21:
	s_or_b64 exec, exec, s[4:5]
	s_waitcnt lgkmcnt(0)
	s_barrier
	s_and_saveexec_b64 s[4:5], vcc
	s_cbranch_execz .LBB0_23
; %bb.22:
	v_add_u32_e32 v24, 0xffffff7e, v28
	v_cndmask_b32_e32 v24, v24, v28, vcc
	v_mul_i32_i24_e32 v24, 12, v24
	v_mov_b32_e32 v25, 0
	v_lshlrev_b64 v[24:25], 3, v[24:25]
	v_mov_b32_e32 v26, s9
	v_add_co_u32_e32 v34, vcc, s8, v24
	v_addc_co_u32_e32 v35, vcc, v26, v25, vcc
	global_load_dwordx4 v[24:27], v[34:35], off offset:1016
	global_load_dwordx4 v[37:40], v[34:35], off offset:936
	;; [unrolled: 1-line block ×6, first 2 shown]
	s_mov_b32 s6, 0xbf788fa5
	s_mov_b32 s7, 0x3f62ad3f
	;; [unrolled: 1-line block ×6, first 2 shown]
	s_waitcnt vmcnt(5)
	v_mul_f32_e32 v29, v32, v27
	s_waitcnt vmcnt(4)
	v_mul_f32_e32 v34, v6, v38
	v_mul_f32_e32 v35, v7, v38
	v_mul_f32_e32 v27, v33, v27
	v_mul_f32_e32 v38, v2, v25
	v_mul_f32_e32 v57, v12, v40
	v_mul_f32_e32 v40, v13, v40
	v_fma_f32 v29, v33, v26, -v29
	v_fma_f32 v33, v7, v37, -v34
	v_mul_f32_e32 v25, v3, v25
	s_waitcnt vmcnt(3)
	v_mul_f32_e32 v58, v0, v44
	s_waitcnt vmcnt(2)
	v_mul_f32_e32 v59, v14, v46
	v_mul_f32_e32 v46, v15, v46
	v_fmac_f32_e32 v27, v32, v26
	v_fma_f32 v26, v3, v24, -v38
	v_fma_f32 v32, v13, v39, -v57
	v_fmac_f32_e32 v40, v12, v39
	v_add_f32_e32 v12, v33, v29
	v_mul_f32_e32 v44, v1, v44
	v_mul_f32_e32 v60, v22, v42
	;; [unrolled: 1-line block ×4, first 2 shown]
	s_waitcnt vmcnt(1)
	v_mul_f32_e32 v62, v20, v52
	v_fmac_f32_e32 v35, v6, v37
	v_fmac_f32_e32 v25, v2, v24
	v_fma_f32 v24, v1, v43, -v58
	v_fma_f32 v15, v15, v45, -v59
	v_fmac_f32_e32 v46, v14, v45
	v_add_f32_e32 v13, v32, v26
	v_mul_f32_e32 v45, 0xbf788fa5, v12
	v_mul_f32_e32 v42, v23, v42
	s_waitcnt vmcnt(0)
	v_mul_f32_e32 v63, v18, v54
	v_mul_f32_e32 v52, v21, v52
	v_fmac_f32_e32 v44, v0, v43
	v_fma_f32 v14, v23, v41, -v60
	v_fma_f32 v17, v17, v47, -v61
	v_fmac_f32_e32 v48, v16, v47
	v_fma_f32 v16, v21, v51, -v62
	v_sub_f32_e32 v34, v35, v27
	v_add_f32_e32 v21, v15, v24
	v_mul_f32_e32 v47, 0x3f62ad3f, v13
	v_mov_b32_e32 v0, v45
	v_mul_f32_e32 v54, v19, v54
	v_mul_f32_e32 v64, v10, v50
	;; [unrolled: 1-line block ×3, first 2 shown]
	v_fmac_f32_e32 v42, v22, v41
	v_fma_f32 v19, v19, v53, -v63
	v_fmac_f32_e32 v52, v20, v51
	v_sub_f32_e32 v37, v40, v25
	v_add_f32_e32 v22, v17, v14
	v_mul_f32_e32 v51, 0xbf3f9e67, v21
	v_mov_b32_e32 v1, v47
	v_fmac_f32_e32 v0, 0x3e750f2a, v34
	v_fmac_f32_e32 v54, v18, v53
	v_fma_f32 v18, v11, v49, -v64
	v_fma_f32 v20, v9, v55, -v65
	v_sub_f32_e32 v38, v46, v44
	v_add_f32_e32 v23, v19, v16
	v_mul_f32_e32 v53, 0x3f116cb1, v22
	v_mov_b32_e32 v2, v51
	v_fmac_f32_e32 v1, 0xbeedf032, v37
	v_add_f32_e32 v0, v5, v0
	v_sub_f32_e32 v39, v48, v42
	v_add_f32_e32 v43, v20, v18
	v_mul_f32_e32 v57, 0xbeb58ec6, v23
	v_mov_b32_e32 v3, v53
	v_fmac_f32_e32 v2, 0x3f29c268, v38
	v_add_f32_e32 v0, v1, v0
	v_mul_f32_e32 v56, v9, v56
	v_mul_f32_e32 v50, v11, v50
	v_sub_f32_e32 v41, v54, v52
	v_mov_b32_e32 v6, v57
	v_fmac_f32_e32 v3, 0xbf52af12, v39
	v_add_f32_e32 v0, v2, v0
	v_mul_f32_e32 v58, 0x3df6dbef, v43
	v_fmac_f32_e32 v56, v8, v55
	v_fmac_f32_e32 v50, v10, v49
	;; [unrolled: 1-line block ×3, first 2 shown]
	v_add_f32_e32 v0, v3, v0
	v_sub_f32_e32 v49, v56, v50
	v_mov_b32_e32 v1, v58
	v_sub_f32_e32 v59, v33, v29
	v_add_f32_e32 v0, v6, v0
	v_fmac_f32_e32 v1, 0xbf7e222b, v49
	v_mul_f32_e32 v60, 0xbe750f2a, v59
	v_sub_f32_e32 v62, v32, v26
	v_add_f32_e32 v1, v1, v0
	v_add_f32_e32 v55, v35, v27
	v_mov_b32_e32 v0, v60
	v_mul_f32_e32 v63, 0x3eedf032, v62
	v_fmac_f32_e32 v0, 0xbf788fa5, v55
	v_add_f32_e32 v61, v40, v25
	v_mov_b32_e32 v2, v63
	v_sub_f32_e32 v65, v15, v24
	v_add_f32_e32 v0, v4, v0
	v_fmac_f32_e32 v2, 0x3f62ad3f, v61
	v_mul_f32_e32 v66, 0xbf29c268, v65
	v_add_f32_e32 v0, v2, v0
	v_add_f32_e32 v64, v46, v44
	v_mov_b32_e32 v2, v66
	v_sub_f32_e32 v68, v17, v14
	v_fmac_f32_e32 v2, 0xbf3f9e67, v64
	v_mul_f32_e32 v69, 0x3f52af12, v68
	v_add_f32_e32 v0, v2, v0
	v_add_f32_e32 v67, v48, v42
	v_mov_b32_e32 v2, v69
	v_sub_f32_e32 v71, v19, v16
	;; [unrolled: 6-line block ×3, first 2 shown]
	v_fmac_f32_e32 v2, 0xbeb58ec6, v70
	v_mul_f32_e32 v75, 0x3f7e222b, v74
	v_add_f32_e32 v0, v2, v0
	v_add_f32_e32 v73, v56, v50
	v_mov_b32_e32 v2, v75
	v_fmac_f32_e32 v2, 0x3df6dbef, v73
	v_mul_f32_e32 v76, 0xbf3f9e67, v12
	v_add_f32_e32 v0, v2, v0
	v_mov_b32_e32 v2, v76
	v_mul_f32_e32 v77, 0x3df6dbef, v13
	v_fmac_f32_e32 v2, 0x3f29c268, v34
	v_mov_b32_e32 v3, v77
	v_add_f32_e32 v2, v5, v2
	v_fmac_f32_e32 v3, 0xbf7e222b, v37
	v_mul_f32_e32 v78, 0x3f116cb1, v21
	v_add_f32_e32 v2, v3, v2
	v_mov_b32_e32 v3, v78
	v_fmac_f32_e32 v3, 0x3f52af12, v38
	v_mul_f32_e32 v79, 0xbf788fa5, v22
	v_add_f32_e32 v2, v3, v2
	v_mov_b32_e32 v3, v79
	v_fmac_f32_e32 v3, 0xbe750f2a, v39
	v_mul_f32_e32 v80, 0x3f62ad3f, v23
	v_add_f32_e32 v2, v3, v2
	v_mov_b32_e32 v3, v80
	v_fmac_f32_e32 v3, 0xbeedf032, v41
	v_mul_f32_e32 v81, 0xbeb58ec6, v43
	v_add_f32_e32 v2, v3, v2
	v_mov_b32_e32 v3, v81
	v_fmac_f32_e32 v3, 0x3f6f5d39, v49
	v_mul_f32_e32 v82, 0xbf29c268, v59
	v_add_f32_e32 v3, v3, v2
	v_mov_b32_e32 v2, v82
	v_mul_f32_e32 v83, 0x3f7e222b, v62
	v_fmac_f32_e32 v2, 0xbf3f9e67, v55
	v_mov_b32_e32 v6, v83
	v_add_f32_e32 v2, v4, v2
	v_fmac_f32_e32 v6, 0x3df6dbef, v61
	v_mul_f32_e32 v84, 0xbf52af12, v65
	v_add_f32_e32 v2, v6, v2
	v_mov_b32_e32 v6, v84
	v_fmac_f32_e32 v6, 0x3f116cb1, v64
	v_mul_f32_e32 v85, 0x3e750f2a, v68
	v_add_f32_e32 v2, v6, v2
	v_mov_b32_e32 v6, v85
	v_fmac_f32_e32 v6, 0xbf788fa5, v67
	v_mul_f32_e32 v86, 0x3eedf032, v71
	v_add_f32_e32 v2, v6, v2
	v_mov_b32_e32 v6, v86
	v_fmac_f32_e32 v6, 0x3f62ad3f, v70
	v_mul_f32_e32 v87, 0xbf6f5d39, v74
	;; [unrolled: 24-line block ×7, first 2 shown]
	v_add_f32_e32 v10, v11, v10
	v_mov_b32_e32 v11, v117
	v_fmac_f32_e32 v11, 0xbeedf032, v49
	v_mul_f32_e32 v118, 0xbf52af12, v59
	v_add_f32_e32 v11, v11, v10
	v_mov_b32_e32 v10, v118
	v_mul_f32_e32 v119, 0xbf6f5d39, v62
	v_fmac_f32_e32 v10, 0x3f116cb1, v55
	v_mov_b32_e32 v120, v119
	v_add_f32_e32 v10, v4, v10
	v_fmac_f32_e32 v120, 0xbeb58ec6, v61
	v_add_f32_e32 v10, v120, v10
	v_mul_f32_e32 v120, 0xbe750f2a, v65
	v_mov_b32_e32 v121, v120
	v_fmac_f32_e32 v121, 0xbf788fa5, v64
	v_add_f32_e32 v10, v121, v10
	v_mul_f32_e32 v121, 0x3f29c268, v68
	v_mov_b32_e32 v122, v121
	;; [unrolled: 4-line block ×5, first 2 shown]
	v_mul_f32_e32 v125, 0x3f116cb1, v13
	v_fmac_f32_e32 v12, 0x3eedf032, v34
	v_mov_b32_e32 v13, v125
	v_add_f32_e32 v12, v5, v12
	v_fmac_f32_e32 v13, 0x3f52af12, v37
	v_mul_f32_e32 v126, 0x3df6dbef, v21
	v_add_f32_e32 v12, v13, v12
	v_mov_b32_e32 v13, v126
	v_fmac_f32_e32 v13, 0x3f7e222b, v38
	v_mul_f32_e32 v127, 0xbeb58ec6, v22
	v_add_f32_e32 v12, v13, v12
	v_mov_b32_e32 v13, v127
	;; [unrolled: 4-line block ×5, first 2 shown]
	v_mul_f32_e32 v62, 0xbf52af12, v62
	v_fmac_f32_e32 v12, 0x3f62ad3f, v55
	v_mov_b32_e32 v21, v62
	v_add_f32_e32 v12, v4, v12
	v_fmac_f32_e32 v21, 0x3f116cb1, v61
	v_mul_f32_e32 v65, 0xbf7e222b, v65
	v_add_f32_e32 v12, v21, v12
	v_mov_b32_e32 v21, v65
	v_fmac_f32_e32 v21, 0x3df6dbef, v64
	v_mul_f32_e32 v68, 0xbf6f5d39, v68
	v_add_f32_e32 v12, v21, v12
	v_mov_b32_e32 v21, v68
	v_fmac_f32_e32 v21, 0xbeb58ec6, v67
	v_mul_f32_e32 v71, 0xbf29c268, v71
	v_add_f32_e32 v12, v21, v12
	v_mov_b32_e32 v21, v71
	v_fmac_f32_e32 v21, 0xbf3f9e67, v70
	v_mul_f32_e32 v74, 0xbe750f2a, v74
	v_add_f32_e32 v12, v21, v12
	v_mov_b32_e32 v21, v74
	v_fmac_f32_e32 v21, 0xbf788fa5, v73
	v_add_f32_e32 v12, v21, v12
	v_add_f32_e32 v21, v5, v33
	;; [unrolled: 1-line block ×8, first 2 shown]
	v_fmac_f32_e32 v45, 0xbe750f2a, v34
	v_add_f32_e32 v15, v15, v16
	v_add_f32_e32 v16, v5, v45
	v_fmac_f32_e32 v47, 0x3eedf032, v37
	v_add_f32_e32 v16, v47, v16
	v_fmac_f32_e32 v51, 0xbf29c268, v38
	v_add_f32_e32 v16, v51, v16
	v_fmac_f32_e32 v53, 0x3f52af12, v39
	v_add_f32_e32 v16, v53, v16
	v_fmac_f32_e32 v57, 0xbf6f5d39, v41
	v_add_f32_e32 v16, v57, v16
	v_fmac_f32_e32 v58, 0x3f7e222b, v49
	v_add_f32_e32 v17, v58, v16
	v_fma_f32 v16, v55, s6, -v60
	v_add_f32_e32 v16, v4, v16
	v_fma_f32 v18, v61, s7, -v63
	v_add_f32_e32 v16, v18, v16
	v_fma_f32 v18, v64, s8, -v66
	v_add_f32_e32 v16, v18, v16
	v_fma_f32 v18, v67, s9, -v69
	v_add_f32_e32 v16, v18, v16
	v_fma_f32 v18, v70, s10, -v72
	v_add_f32_e32 v16, v18, v16
	v_fma_f32 v18, v73, s11, -v75
	v_fmac_f32_e32 v76, 0xbf29c268, v34
	v_add_f32_e32 v16, v18, v16
	v_add_f32_e32 v18, v5, v76
	v_fmac_f32_e32 v77, 0x3f7e222b, v37
	v_add_f32_e32 v18, v77, v18
	v_fmac_f32_e32 v78, 0xbf52af12, v38
	v_add_f32_e32 v18, v78, v18
	v_fmac_f32_e32 v79, 0x3e750f2a, v39
	v_add_f32_e32 v18, v79, v18
	v_fmac_f32_e32 v80, 0x3eedf032, v41
	v_add_f32_e32 v18, v80, v18
	v_fmac_f32_e32 v81, 0xbf6f5d39, v49
	v_add_f32_e32 v19, v81, v18
	v_fma_f32 v18, v55, s8, -v82
	v_add_f32_e32 v18, v4, v18
	v_fma_f32 v20, v61, s11, -v83
	v_add_f32_e32 v18, v20, v18
	v_fma_f32 v20, v64, s9, -v84
	v_add_f32_e32 v18, v20, v18
	v_fma_f32 v20, v67, s6, -v85
	v_add_f32_e32 v18, v20, v18
	v_fma_f32 v20, v70, s7, -v86
	v_add_f32_e32 v18, v20, v18
	v_fma_f32 v20, v73, s10, -v87
	;; [unrolled: 24-line block ×3, first 2 shown]
	v_fmac_f32_e32 v100, 0xbf7e222b, v34
	v_add_f32_e32 v20, v22, v20
	v_add_f32_e32 v22, v5, v100
	v_fmac_f32_e32 v101, 0xbe750f2a, v37
	v_add_f32_e32 v22, v101, v22
	v_fmac_f32_e32 v102, 0x3f6f5d39, v38
	;; [unrolled: 2-line block ×3, first 2 shown]
	v_add_f32_e32 v14, v15, v14
	v_add_f32_e32 v22, v103, v22
	v_fmac_f32_e32 v104, 0xbf52af12, v41
	v_add_f32_e32 v14, v14, v24
	v_add_f32_e32 v22, v104, v22
	v_fmac_f32_e32 v105, 0xbf29c268, v49
	v_add_f32_e32 v14, v14, v26
	v_add_f32_e32 v23, v105, v22
	v_fma_f32 v22, v55, s11, -v106
	v_add_f32_e32 v15, v14, v29
	v_add_f32_e32 v14, v4, v35
	;; [unrolled: 1-line block ×3, first 2 shown]
	v_fma_f32 v24, v61, s6, -v107
	v_add_f32_e32 v14, v14, v40
	v_add_f32_e32 v22, v24, v22
	v_fma_f32 v24, v64, s10, -v108
	v_add_f32_e32 v14, v14, v46
	v_add_f32_e32 v22, v24, v22
	;; [unrolled: 3-line block ×4, first 2 shown]
	v_fma_f32 v24, v73, s8, -v111
	v_fmac_f32_e32 v112, 0xbf52af12, v34
	v_add_f32_e32 v14, v14, v56
	v_add_f32_e32 v22, v24, v22
	;; [unrolled: 1-line block ×3, first 2 shown]
	v_fmac_f32_e32 v113, 0xbf6f5d39, v37
	v_add_f32_e32 v14, v14, v50
	v_add_f32_e32 v24, v113, v24
	v_fmac_f32_e32 v114, 0xbe750f2a, v38
	v_add_f32_e32 v14, v14, v52
	v_add_f32_e32 v24, v114, v24
	;; [unrolled: 3-line block ×5, first 2 shown]
	v_fma_f32 v24, v55, s9, -v118
	v_add_f32_e32 v24, v4, v24
	v_fma_f32 v26, v61, s10, -v119
	v_add_f32_e32 v24, v26, v24
	;; [unrolled: 2-line block ×6, first 2 shown]
	v_add_f32_e32 v24, v26, v24
	v_fmac_f32_e32 v124, 0xbeedf032, v34
	v_fma_f32 v26, v55, s7, -v59
	v_add_f32_e32 v5, v5, v124
	v_fmac_f32_e32 v125, 0xbf52af12, v37
	v_add_f32_e32 v4, v4, v26
	v_fma_f32 v26, v61, s9, -v62
	ds_write2_b64 v36, v[14:15], v[12:13] offset1:130
	v_add_u32_e32 v12, 0x800, v36
	v_add_f32_e32 v5, v125, v5
	v_fmac_f32_e32 v126, 0xbf7e222b, v38
	v_add_f32_e32 v4, v26, v4
	v_fma_f32 v26, v64, s11, -v65
	ds_write2_b64 v12, v[10:11], v[8:9] offset0:4 offset1:134
	v_add_u32_e32 v8, 0x1000, v36
	v_add_f32_e32 v5, v126, v5
	v_fmac_f32_e32 v127, 0xbf6f5d39, v39
	v_add_f32_e32 v4, v26, v4
	v_fma_f32 v26, v67, s10, -v68
	ds_write2_b64 v8, v[6:7], v[2:3] offset0:8 offset1:138
	;; [unrolled: 6-line block ×4, first 2 shown]
	v_add_u32_e32 v0, 0x2800, v36
	v_add_f32_e32 v5, v43, v5
	v_add_f32_e32 v4, v26, v4
	ds_write2_b64 v0, v[22:23], v[24:25] offset0:20 offset1:150
	ds_write_b64 v36, v[4:5] offset:12480
.LBB0_23:
	s_or_b64 exec, exec, s[4:5]
	s_waitcnt lgkmcnt(0)
	s_barrier
	s_and_saveexec_b64 s[4:5], s[0:1]
	s_cbranch_execz .LBB0_25
; %bb.24:
	v_lshl_add_u32 v6, v28, 3, 0
	v_mov_b32_e32 v29, 0
	ds_read2_b64 v[0:3], v6 offset1:169
	v_mov_b32_e32 v4, s3
	v_add_co_u32_e32 v7, vcc, s2, v30
	v_addc_co_u32_e32 v8, vcc, v4, v31, vcc
	v_lshlrev_b64 v[4:5], 3, v[28:29]
	v_add_co_u32_e32 v4, vcc, v7, v4
	v_addc_co_u32_e32 v5, vcc, v8, v5, vcc
	s_waitcnt lgkmcnt(0)
	global_store_dwordx2 v[4:5], v[0:1], off
	v_add_u32_e32 v0, 0xa9, v28
	v_mov_b32_e32 v1, v29
	v_lshlrev_b64 v[0:1], 3, v[0:1]
	v_add_u32_e32 v4, 0x152, v28
	v_add_co_u32_e32 v0, vcc, v7, v0
	v_addc_co_u32_e32 v1, vcc, v8, v1, vcc
	global_store_dwordx2 v[0:1], v[2:3], off
	v_add_u32_e32 v0, 0x800, v6
	v_mov_b32_e32 v5, v29
	ds_read2_b64 v[0:3], v0 offset0:82 offset1:251
	v_lshlrev_b64 v[4:5], 3, v[4:5]
	v_add_co_u32_e32 v4, vcc, v7, v4
	v_addc_co_u32_e32 v5, vcc, v8, v5, vcc
	s_waitcnt lgkmcnt(0)
	global_store_dwordx2 v[4:5], v[0:1], off
	v_add_u32_e32 v0, 0x1fb, v28
	v_mov_b32_e32 v1, v29
	v_lshlrev_b64 v[0:1], 3, v[0:1]
	v_add_u32_e32 v4, 0x2a4, v28
	v_add_co_u32_e32 v0, vcc, v7, v0
	v_addc_co_u32_e32 v1, vcc, v8, v1, vcc
	global_store_dwordx2 v[0:1], v[2:3], off
	v_add_u32_e32 v0, 0x1400, v6
	v_mov_b32_e32 v5, v29
	ds_read2_b64 v[0:3], v0 offset0:36 offset1:205
	;; [unrolled: 15-line block ×4, first 2 shown]
	v_lshlrev_b64 v[4:5], 3, v[4:5]
	v_add_u32_e32 v28, 0x5f1, v28
	v_add_co_u32_e32 v4, vcc, v7, v4
	v_addc_co_u32_e32 v5, vcc, v8, v5, vcc
	s_waitcnt lgkmcnt(0)
	global_store_dwordx2 v[4:5], v[0:1], off
	v_lshlrev_b64 v[0:1], 3, v[28:29]
	v_add_co_u32_e32 v0, vcc, v7, v0
	v_addc_co_u32_e32 v1, vcc, v8, v1, vcc
	global_store_dwordx2 v[0:1], v[2:3], off
.LBB0_25:
	s_endpgm
	.section	.rodata,"a",@progbits
	.p2align	6, 0x0
	.amdhsa_kernel fft_rtc_back_len1690_factors_13_10_13_wgs_169_tpt_169_sp_ip_CI_unitstride_sbrr_C2R_dirReg
		.amdhsa_group_segment_fixed_size 0
		.amdhsa_private_segment_fixed_size 0
		.amdhsa_kernarg_size 88
		.amdhsa_user_sgpr_count 6
		.amdhsa_user_sgpr_private_segment_buffer 1
		.amdhsa_user_sgpr_dispatch_ptr 0
		.amdhsa_user_sgpr_queue_ptr 0
		.amdhsa_user_sgpr_kernarg_segment_ptr 1
		.amdhsa_user_sgpr_dispatch_id 0
		.amdhsa_user_sgpr_flat_scratch_init 0
		.amdhsa_user_sgpr_private_segment_size 0
		.amdhsa_uses_dynamic_stack 0
		.amdhsa_system_sgpr_private_segment_wavefront_offset 0
		.amdhsa_system_sgpr_workgroup_id_x 1
		.amdhsa_system_sgpr_workgroup_id_y 0
		.amdhsa_system_sgpr_workgroup_id_z 0
		.amdhsa_system_sgpr_workgroup_info 0
		.amdhsa_system_vgpr_workitem_id 0
		.amdhsa_next_free_vgpr 131
		.amdhsa_next_free_sgpr 22
		.amdhsa_reserve_vcc 1
		.amdhsa_reserve_flat_scratch 0
		.amdhsa_float_round_mode_32 0
		.amdhsa_float_round_mode_16_64 0
		.amdhsa_float_denorm_mode_32 3
		.amdhsa_float_denorm_mode_16_64 3
		.amdhsa_dx10_clamp 1
		.amdhsa_ieee_mode 1
		.amdhsa_fp16_overflow 0
		.amdhsa_exception_fp_ieee_invalid_op 0
		.amdhsa_exception_fp_denorm_src 0
		.amdhsa_exception_fp_ieee_div_zero 0
		.amdhsa_exception_fp_ieee_overflow 0
		.amdhsa_exception_fp_ieee_underflow 0
		.amdhsa_exception_fp_ieee_inexact 0
		.amdhsa_exception_int_div_zero 0
	.end_amdhsa_kernel
	.text
.Lfunc_end0:
	.size	fft_rtc_back_len1690_factors_13_10_13_wgs_169_tpt_169_sp_ip_CI_unitstride_sbrr_C2R_dirReg, .Lfunc_end0-fft_rtc_back_len1690_factors_13_10_13_wgs_169_tpt_169_sp_ip_CI_unitstride_sbrr_C2R_dirReg
                                        ; -- End function
	.section	.AMDGPU.csdata,"",@progbits
; Kernel info:
; codeLenInByte = 10520
; NumSgprs: 26
; NumVgprs: 131
; ScratchSize: 0
; MemoryBound: 0
; FloatMode: 240
; IeeeMode: 1
; LDSByteSize: 0 bytes/workgroup (compile time only)
; SGPRBlocks: 3
; VGPRBlocks: 32
; NumSGPRsForWavesPerEU: 26
; NumVGPRsForWavesPerEU: 131
; Occupancy: 1
; WaveLimiterHint : 1
; COMPUTE_PGM_RSRC2:SCRATCH_EN: 0
; COMPUTE_PGM_RSRC2:USER_SGPR: 6
; COMPUTE_PGM_RSRC2:TRAP_HANDLER: 0
; COMPUTE_PGM_RSRC2:TGID_X_EN: 1
; COMPUTE_PGM_RSRC2:TGID_Y_EN: 0
; COMPUTE_PGM_RSRC2:TGID_Z_EN: 0
; COMPUTE_PGM_RSRC2:TIDIG_COMP_CNT: 0
	.type	__hip_cuid_331148dc0c95bada,@object ; @__hip_cuid_331148dc0c95bada
	.section	.bss,"aw",@nobits
	.globl	__hip_cuid_331148dc0c95bada
__hip_cuid_331148dc0c95bada:
	.byte	0                               ; 0x0
	.size	__hip_cuid_331148dc0c95bada, 1

	.ident	"AMD clang version 19.0.0git (https://github.com/RadeonOpenCompute/llvm-project roc-6.4.0 25133 c7fe45cf4b819c5991fe208aaa96edf142730f1d)"
	.section	".note.GNU-stack","",@progbits
	.addrsig
	.addrsig_sym __hip_cuid_331148dc0c95bada
	.amdgpu_metadata
---
amdhsa.kernels:
  - .args:
      - .actual_access:  read_only
        .address_space:  global
        .offset:         0
        .size:           8
        .value_kind:     global_buffer
      - .offset:         8
        .size:           8
        .value_kind:     by_value
      - .actual_access:  read_only
        .address_space:  global
        .offset:         16
        .size:           8
        .value_kind:     global_buffer
      - .actual_access:  read_only
        .address_space:  global
        .offset:         24
        .size:           8
        .value_kind:     global_buffer
      - .offset:         32
        .size:           8
        .value_kind:     by_value
      - .actual_access:  read_only
        .address_space:  global
        .offset:         40
        .size:           8
        .value_kind:     global_buffer
      - .actual_access:  read_only
        .address_space:  global
        .offset:         48
        .size:           8
        .value_kind:     global_buffer
      - .offset:         56
        .size:           4
        .value_kind:     by_value
      - .actual_access:  read_only
        .address_space:  global
        .offset:         64
        .size:           8
        .value_kind:     global_buffer
      - .actual_access:  read_only
        .address_space:  global
        .offset:         72
        .size:           8
        .value_kind:     global_buffer
      - .address_space:  global
        .offset:         80
        .size:           8
        .value_kind:     global_buffer
    .group_segment_fixed_size: 0
    .kernarg_segment_align: 8
    .kernarg_segment_size: 88
    .language:       OpenCL C
    .language_version:
      - 2
      - 0
    .max_flat_workgroup_size: 169
    .name:           fft_rtc_back_len1690_factors_13_10_13_wgs_169_tpt_169_sp_ip_CI_unitstride_sbrr_C2R_dirReg
    .private_segment_fixed_size: 0
    .sgpr_count:     26
    .sgpr_spill_count: 0
    .symbol:         fft_rtc_back_len1690_factors_13_10_13_wgs_169_tpt_169_sp_ip_CI_unitstride_sbrr_C2R_dirReg.kd
    .uniform_work_group_size: 1
    .uses_dynamic_stack: false
    .vgpr_count:     131
    .vgpr_spill_count: 0
    .wavefront_size: 64
amdhsa.target:   amdgcn-amd-amdhsa--gfx906
amdhsa.version:
  - 1
  - 2
...

	.end_amdgpu_metadata
